;; amdgpu-corpus repo=zjin-lcf/HeCBench kind=compiled arch=gfx950 opt=O3
	.amdgcn_target "amdgcn-amd-amdhsa--gfx950"
	.amdhsa_code_object_version 6
	.text
	.protected	_Z26compute_haversine_distancePK15HIP_vector_typeIdLj4EEPdi ; -- Begin function _Z26compute_haversine_distancePK15HIP_vector_typeIdLj4EEPdi
	.globl	_Z26compute_haversine_distancePK15HIP_vector_typeIdLj4EEPdi
	.p2align	8
	.type	_Z26compute_haversine_distancePK15HIP_vector_typeIdLj4EEPdi,@function
_Z26compute_haversine_distancePK15HIP_vector_typeIdLj4EEPdi: ; @_Z26compute_haversine_distancePK15HIP_vector_typeIdLj4EEPdi
; %bb.0:
	s_load_dword s3, s[0:1], 0x24
	s_load_dword s4, s[0:1], 0x10
	s_waitcnt lgkmcnt(0)
	s_and_b32 s3, s3, 0xffff
	s_mul_i32 s2, s2, s3
	v_add_u32_e32 v8, s2, v0
	v_cmp_gt_i32_e32 vcc, s4, v8
	s_and_saveexec_b64 s[2:3], vcc
	s_cbranch_execz .LBB0_28
; %bb.1:
	s_load_dwordx2 s[2:3], s[0:1], 0x0
	v_ashrrev_i32_e32 v9, 31, v8
	v_lshlrev_b64 v[0:1], 5, v[8:9]
	s_mov_b32 s7, 0x400921fb
	s_mov_b32 s6, 0x54442d18
	s_waitcnt lgkmcnt(0)
	v_lshl_add_u64 v[10:11], s[2:3], 0, v[0:1]
	global_load_dwordx4 v[4:7], v[10:11], off
	global_load_dwordx4 v[0:3], v[10:11], off offset:16
	s_mov_b32 s4, 0
	s_mov_b32 s5, 0x40668000
	;; [unrolled: 1-line block ×4, first 2 shown]
                                        ; implicit-def: $vgpr38
	s_waitcnt vmcnt(1)
	v_mul_f64 v[4:5], v[4:5], s[6:7]
	s_waitcnt vmcnt(0)
	v_mul_f64 v[0:1], v[0:1], s[6:7]
	v_div_scale_f64 v[10:11], s[2:3], s[4:5], s[4:5], v[4:5]
	v_div_scale_f64 v[14:15], s[2:3], s[4:5], s[4:5], v[0:1]
	v_rcp_f64_e32 v[16:17], v[10:11]
	v_rcp_f64_e32 v[18:19], v[14:15]
	v_div_scale_f64 v[12:13], vcc, v[4:5], s[4:5], v[4:5]
	v_fma_f64 v[22:23], -v[10:11], v[16:17], 1.0
	v_fma_f64 v[24:25], -v[14:15], v[18:19], 1.0
	v_fmac_f64_e32 v[16:17], v[16:17], v[22:23]
	v_fmac_f64_e32 v[18:19], v[18:19], v[24:25]
	v_fma_f64 v[22:23], -v[10:11], v[16:17], 1.0
	v_fma_f64 v[24:25], -v[14:15], v[18:19], 1.0
	v_fmac_f64_e32 v[16:17], v[16:17], v[22:23]
	v_div_scale_f64 v[20:21], s[2:3], v[0:1], s[4:5], v[0:1]
	v_fmac_f64_e32 v[18:19], v[18:19], v[24:25]
	v_mul_f64 v[22:23], v[12:13], v[16:17]
	v_mul_f64 v[24:25], v[20:21], v[18:19]
	v_fma_f64 v[10:11], -v[10:11], v[22:23], v[12:13]
	v_fma_f64 v[12:13], -v[14:15], v[24:25], v[20:21]
	v_div_fmas_f64 v[10:11], v[10:11], v[16:17], v[22:23]
	s_mov_b64 vcc, s[2:3]
	v_div_fixup_f64 v[10:11], v[10:11], s[4:5], v[4:5]
	v_div_fmas_f64 v[4:5], v[12:13], v[18:19], v[24:25]
	v_div_fixup_f64 v[0:1], v[4:5], s[4:5], v[0:1]
	v_add_f64 v[4:5], v[0:1], -v[10:11]
	v_mul_f64 v[4:5], v[4:5], 0.5
	v_cmp_nlt_f64_e64 s[4:5], |v[4:5]|, s[8:9]
	v_trig_preop_f64 v[24:25], |v[4:5]|, 0
	v_trig_preop_f64 v[22:23], |v[4:5]|, 1
	v_trig_preop_f64 v[20:21], |v[4:5]|, 2
                                        ; implicit-def: $vgpr12_vgpr13
                                        ; implicit-def: $vgpr14_vgpr15
	s_and_saveexec_b64 s[2:3], s[4:5]
	s_xor_b64 s[8:9], exec, s[2:3]
	s_cbranch_execz .LBB0_3
; %bb.2:
	s_mov_b32 s2, 0
	s_mov_b32 s3, 0x7b000000
	s_movk_i32 s7, 0xff80
	v_and_b32_e32 v14, 0x7fffffff, v5
	v_ldexp_f64 v[12:13], |v[4:5]|, s7
	v_cmp_ge_f64_e64 vcc, |v[4:5]|, s[2:3]
	s_mov_b32 s2, 0
	s_mov_b32 s3, 0x7ff00000
	v_cndmask_b32_e32 v13, v14, v13, vcc
	v_cndmask_b32_e32 v12, v4, v12, vcc
	v_mul_f64 v[16:17], v[24:25], v[12:13]
	v_mul_f64 v[14:15], v[22:23], v[12:13]
	v_fma_f64 v[18:19], v[24:25], v[12:13], -v[16:17]
	v_add_f64 v[26:27], v[14:15], v[18:19]
	v_add_f64 v[34:35], v[26:27], -v[14:15]
	v_add_f64 v[18:19], v[18:19], -v[34:35]
	;; [unrolled: 1-line block ×4, first 2 shown]
	v_add_f64 v[18:19], v[18:19], v[34:35]
	v_fma_f64 v[14:15], v[22:23], v[12:13], -v[14:15]
	v_mul_f64 v[34:35], v[20:21], v[12:13]
	v_add_f64 v[36:37], v[34:35], v[14:15]
	v_add_f64 v[28:29], v[16:17], v[26:27]
	v_add_f64 v[38:39], v[36:37], v[18:19]
	v_ldexp_f64 v[30:31], v[28:29], -2
	v_add_f64 v[16:17], v[28:29], -v[16:17]
	v_add_f64 v[28:29], v[38:39], -v[36:37]
	;; [unrolled: 1-line block ×5, first 2 shown]
	v_add_f64 v[18:19], v[18:19], v[28:29]
	v_add_f64 v[28:29], v[36:37], -v[34:35]
	v_add_f64 v[14:15], v[14:15], -v[28:29]
	;; [unrolled: 1-line block ×5, first 2 shown]
	v_add_f64 v[14:15], v[14:15], v[28:29]
	v_fract_f64_e32 v[32:33], v[30:31]
	v_add_f64 v[26:27], v[16:17], v[38:39]
	v_add_f64 v[14:15], v[14:15], v[18:19]
	v_fma_f64 v[12:13], v[20:21], v[12:13], -v[34:35]
	v_add_f64 v[16:17], v[26:27], -v[16:17]
	v_add_f64 v[12:13], v[12:13], v[14:15]
	v_ldexp_f64 v[14:15], v[32:33], 2
	v_cmp_neq_f64_e64 vcc, |v[30:31]|, s[2:3]
	v_add_f64 v[16:17], v[38:39], -v[16:17]
	v_add_f64 v[12:13], v[16:17], v[12:13]
	v_cndmask_b32_e32 v15, 0, v15, vcc
	v_cndmask_b32_e32 v14, 0, v14, vcc
	v_add_f64 v[16:17], v[26:27], v[14:15]
	v_mov_b32_e32 v18, 0x40100000
	v_cmp_gt_f64_e32 vcc, 0, v[16:17]
	v_mov_b32_e32 v16, 0
	s_mov_b32 s7, 0x3ff921fb
	v_cndmask_b32_e32 v17, 0, v18, vcc
	v_add_f64 v[14:15], v[14:15], v[16:17]
	v_add_f64 v[18:19], v[26:27], v[14:15]
	v_cvt_i32_f64_e32 v17, v[18:19]
	v_cvt_f64_i32_e32 v[18:19], v17
	v_add_f64 v[14:15], v[14:15], -v[18:19]
	v_add_f64 v[18:19], v[26:27], v[14:15]
	v_add_f64 v[14:15], v[18:19], -v[14:15]
	v_add_f64 v[14:15], v[26:27], -v[14:15]
	v_add_f64 v[12:13], v[12:13], v[14:15]
	v_cmp_le_f64_e32 vcc, 0.5, v[18:19]
	v_mov_b32_e32 v14, 0x3ff00000
	s_nop 0
	v_addc_co_u32_e64 v38, s[2:3], 0, v17, vcc
	v_cndmask_b32_e32 v17, 0, v14, vcc
	v_add_f64 v[14:15], v[18:19], -v[16:17]
	v_add_f64 v[16:17], v[14:15], v[12:13]
	v_add_f64 v[14:15], v[16:17], -v[14:15]
	v_add_f64 v[12:13], v[12:13], -v[14:15]
	v_mul_f64 v[14:15], v[16:17], s[6:7]
	s_mov_b32 s2, 0x33145c07
	v_fma_f64 v[18:19], v[16:17], s[6:7], -v[14:15]
	s_mov_b32 s3, 0x3c91a626
	v_fmac_f64_e32 v[18:19], s[2:3], v[16:17]
	v_fmac_f64_e32 v[18:19], s[6:7], v[12:13]
	v_add_f64 v[12:13], v[14:15], v[18:19]
	v_add_f64 v[14:15], v[12:13], -v[14:15]
	v_add_f64 v[14:15], v[18:19], -v[14:15]
	s_andn2_saveexec_b64 s[2:3], s[8:9]
	s_cbranch_execz .LBB0_5
	s_branch .LBB0_4
.LBB0_3:
	s_andn2_saveexec_b64 s[2:3], s[8:9]
	s_cbranch_execz .LBB0_5
.LBB0_4:
	s_mov_b32 s6, 0x6dc9c883
	s_mov_b32 s7, 0x3fe45f30
	v_mul_f64 v[12:13], |v[4:5]|, s[6:7]
	s_mov_b32 s6, 0x54442d18
	v_rndne_f64_e32 v[16:17], v[12:13]
	s_mov_b32 s7, 0xbff921fb
	v_fma_f64 v[12:13], v[16:17], s[6:7], |v[4:5]|
	s_mov_b32 s7, 0xbc91a626
	s_mov_b32 s6, 0x33145c00
	v_mul_f64 v[18:19], v[16:17], s[6:7]
	v_add_f64 v[28:29], v[12:13], v[18:19]
	v_fma_f64 v[14:15], s[6:7], v[16:17], v[12:13]
	s_mov_b32 s7, 0x3c91a626
	v_add_f64 v[12:13], v[12:13], -v[28:29]
	v_fma_f64 v[26:27], s[6:7], v[16:17], v[18:19]
	v_add_f64 v[12:13], v[12:13], v[18:19]
	v_add_f64 v[18:19], v[28:29], -v[14:15]
	v_add_f64 v[12:13], v[18:19], v[12:13]
	s_mov_b32 s6, 0x252049c0
	v_add_f64 v[18:19], v[12:13], -v[26:27]
	s_mov_b32 s7, 0xb97b839a
	v_fmac_f64_e32 v[18:19], s[6:7], v[16:17]
	v_add_f64 v[12:13], v[14:15], v[18:19]
	v_add_f64 v[14:15], v[12:13], -v[14:15]
	v_add_f64 v[14:15], v[18:19], -v[14:15]
	v_cvt_i32_f64_e32 v38, v[16:17]
.LBB0_5:
	s_or_b64 exec, exec, s[2:3]
                                        ; implicit-def: $vgpr39
                                        ; implicit-def: $vgpr16_vgpr17
                                        ; implicit-def: $vgpr18_vgpr19
	s_and_saveexec_b64 s[2:3], s[4:5]
	s_xor_b64 s[4:5], exec, s[2:3]
	s_cbranch_execz .LBB0_7
; %bb.6:
	s_mov_b32 s2, 0
	s_mov_b32 s3, 0x7b000000
	s_movk_i32 s6, 0xff80
	v_and_b32_e32 v18, 0x7fffffff, v5
	v_ldexp_f64 v[16:17], |v[4:5]|, s6
	v_cmp_ge_f64_e64 vcc, |v[4:5]|, s[2:3]
	s_mov_b32 s2, 0
	s_mov_b32 s3, 0x7ff00000
	v_cndmask_b32_e32 v17, v18, v17, vcc
	v_cndmask_b32_e32 v16, v4, v16, vcc
	v_mul_f64 v[26:27], v[24:25], v[16:17]
	v_mul_f64 v[18:19], v[22:23], v[16:17]
	v_fma_f64 v[24:25], v[24:25], v[16:17], -v[26:27]
	v_add_f64 v[28:29], v[18:19], v[24:25]
	v_add_f64 v[36:37], v[28:29], -v[18:19]
	v_add_f64 v[24:25], v[24:25], -v[36:37]
	;; [unrolled: 1-line block ×4, first 2 shown]
	v_fma_f64 v[18:19], v[22:23], v[16:17], -v[18:19]
	v_mul_f64 v[22:23], v[20:21], v[16:17]
	v_add_f64 v[24:25], v[24:25], v[36:37]
	v_add_f64 v[36:37], v[22:23], v[18:19]
	;; [unrolled: 1-line block ×4, first 2 shown]
	v_ldexp_f64 v[32:33], v[30:31], -2
	v_add_f64 v[26:27], v[30:31], -v[26:27]
	v_add_f64 v[30:31], v[40:41], -v[36:37]
	;; [unrolled: 1-line block ×5, first 2 shown]
	v_add_f64 v[24:25], v[24:25], v[30:31]
	v_add_f64 v[30:31], v[36:37], -v[22:23]
	v_add_f64 v[18:19], v[18:19], -v[30:31]
	;; [unrolled: 1-line block ×4, first 2 shown]
	v_add_f64 v[18:19], v[18:19], v[30:31]
	v_fract_f64_e32 v[34:35], v[32:33]
	v_add_f64 v[18:19], v[18:19], v[24:25]
	v_fma_f64 v[16:17], v[20:21], v[16:17], -v[22:23]
	v_add_f64 v[26:27], v[28:29], -v[26:27]
	v_add_f64 v[16:17], v[16:17], v[18:19]
	v_ldexp_f64 v[18:19], v[34:35], 2
	v_cmp_neq_f64_e64 vcc, |v[32:33]|, s[2:3]
	v_add_f64 v[28:29], v[26:27], v[40:41]
	v_mov_b32_e32 v22, 0x40100000
	v_cndmask_b32_e32 v19, 0, v19, vcc
	v_cndmask_b32_e32 v18, 0, v18, vcc
	v_add_f64 v[20:21], v[28:29], v[18:19]
	v_cmp_gt_f64_e32 vcc, 0, v[20:21]
	v_mov_b32_e32 v20, 0
	v_add_f64 v[26:27], v[28:29], -v[26:27]
	v_cndmask_b32_e32 v21, 0, v22, vcc
	v_add_f64 v[18:19], v[18:19], v[20:21]
	v_add_f64 v[22:23], v[28:29], v[18:19]
	v_cvt_i32_f64_e32 v21, v[22:23]
	v_cvt_f64_i32_e32 v[22:23], v21
	v_add_f64 v[18:19], v[18:19], -v[22:23]
	v_add_f64 v[22:23], v[28:29], v[18:19]
	v_add_f64 v[26:27], v[40:41], -v[26:27]
	v_add_f64 v[18:19], v[22:23], -v[18:19]
	v_add_f64 v[16:17], v[26:27], v[16:17]
	v_add_f64 v[18:19], v[28:29], -v[18:19]
	v_add_f64 v[16:17], v[16:17], v[18:19]
	v_cmp_le_f64_e32 vcc, 0.5, v[22:23]
	v_mov_b32_e32 v18, 0x3ff00000
	s_mov_b32 s6, 0x33145c07
	v_addc_co_u32_e64 v39, s[2:3], 0, v21, vcc
	v_cndmask_b32_e32 v21, 0, v18, vcc
	v_add_f64 v[18:19], v[22:23], -v[20:21]
	v_add_f64 v[20:21], v[18:19], v[16:17]
	s_mov_b32 s2, 0x54442d18
	v_add_f64 v[18:19], v[20:21], -v[18:19]
	s_mov_b32 s3, 0x3ff921fb
	v_add_f64 v[16:17], v[16:17], -v[18:19]
	v_mul_f64 v[18:19], v[20:21], s[2:3]
	v_fma_f64 v[22:23], v[20:21], s[2:3], -v[18:19]
	s_mov_b32 s7, 0x3c91a626
	v_fmac_f64_e32 v[22:23], s[6:7], v[20:21]
	v_fmac_f64_e32 v[22:23], s[2:3], v[16:17]
	v_add_f64 v[16:17], v[18:19], v[22:23]
	v_add_f64 v[18:19], v[16:17], -v[18:19]
	v_add_f64 v[18:19], v[22:23], -v[18:19]
	s_andn2_saveexec_b64 s[2:3], s[4:5]
	s_cbranch_execnz .LBB0_8
	s_branch .LBB0_9
.LBB0_7:
	s_andn2_saveexec_b64 s[2:3], s[4:5]
	s_cbranch_execz .LBB0_9
.LBB0_8:
	s_mov_b32 s4, 0x6dc9c883
	s_mov_b32 s5, 0x3fe45f30
	v_mul_f64 v[16:17], |v[4:5]|, s[4:5]
	s_mov_b32 s4, 0x54442d18
	v_rndne_f64_e32 v[20:21], v[16:17]
	s_mov_b32 s5, 0xbff921fb
	v_fma_f64 v[16:17], v[20:21], s[4:5], |v[4:5]|
	s_mov_b32 s5, 0xbc91a626
	s_mov_b32 s4, 0x33145c00
	v_mul_f64 v[22:23], v[20:21], s[4:5]
	v_add_f64 v[26:27], v[16:17], v[22:23]
	v_fma_f64 v[18:19], s[4:5], v[20:21], v[16:17]
	s_mov_b32 s5, 0x3c91a626
	v_add_f64 v[16:17], v[16:17], -v[26:27]
	v_fma_f64 v[24:25], s[4:5], v[20:21], v[22:23]
	v_add_f64 v[16:17], v[16:17], v[22:23]
	v_add_f64 v[22:23], v[26:27], -v[18:19]
	v_add_f64 v[16:17], v[22:23], v[16:17]
	s_mov_b32 s4, 0x252049c0
	v_add_f64 v[22:23], v[16:17], -v[24:25]
	s_mov_b32 s5, 0xb97b839a
	v_fmac_f64_e32 v[22:23], s[4:5], v[20:21]
	v_add_f64 v[16:17], v[18:19], v[22:23]
	v_add_f64 v[18:19], v[16:17], -v[18:19]
	v_add_f64 v[18:19], v[22:23], -v[18:19]
	v_cvt_i32_f64_e32 v39, v[20:21]
.LBB0_9:
	s_or_b64 exec, exec, s[2:3]
	s_mov_b32 s7, 0x400921fb
	s_mov_b32 s6, 0x54442d18
	;; [unrolled: 1-line block ×3, first 2 shown]
	v_mul_f64 v[6:7], v[6:7], s[6:7]
	s_mov_b32 s3, 0x40668000
	v_div_scale_f64 v[20:21], s[4:5], s[2:3], s[2:3], v[6:7]
	v_rcp_f64_e32 v[22:23], v[20:21]
	v_mul_f64 v[2:3], v[2:3], s[6:7]
                                        ; implicit-def: $vgpr40
	v_fma_f64 v[24:25], -v[20:21], v[22:23], 1.0
	v_fmac_f64_e32 v[22:23], v[22:23], v[24:25]
	v_fma_f64 v[24:25], -v[20:21], v[22:23], 1.0
	v_fmac_f64_e32 v[22:23], v[22:23], v[24:25]
	v_div_scale_f64 v[24:25], vcc, v[6:7], s[2:3], v[6:7]
	v_mul_f64 v[26:27], v[24:25], v[22:23]
	v_fma_f64 v[20:21], -v[20:21], v[26:27], v[24:25]
	v_div_scale_f64 v[24:25], s[4:5], s[2:3], s[2:3], v[2:3]
	v_rcp_f64_e32 v[28:29], v[24:25]
	v_div_fmas_f64 v[20:21], v[20:21], v[22:23], v[26:27]
	v_div_fixup_f64 v[6:7], v[20:21], s[2:3], v[6:7]
	v_fma_f64 v[20:21], -v[24:25], v[28:29], 1.0
	v_fmac_f64_e32 v[28:29], v[28:29], v[20:21]
	v_fma_f64 v[20:21], -v[24:25], v[28:29], 1.0
	v_fmac_f64_e32 v[28:29], v[28:29], v[20:21]
	v_div_scale_f64 v[20:21], vcc, v[2:3], s[2:3], v[2:3]
	v_mul_f64 v[22:23], v[20:21], v[28:29]
	v_fma_f64 v[20:21], -v[24:25], v[22:23], v[20:21]
	s_nop 1
	v_div_fmas_f64 v[20:21], v[20:21], v[28:29], v[22:23]
	v_div_fixup_f64 v[2:3], v[20:21], s[2:3], v[2:3]
	v_add_f64 v[2:3], v[2:3], -v[6:7]
	s_mov_b32 s2, 0
	v_mul_f64 v[2:3], v[2:3], 0.5
	s_mov_b32 s3, 0x41d00000
	v_cmp_nlt_f64_e64 s[4:5], |v[2:3]|, s[2:3]
	v_trig_preop_f64 v[30:31], |v[2:3]|, 0
	v_trig_preop_f64 v[28:29], |v[2:3]|, 1
	;; [unrolled: 1-line block ×3, first 2 shown]
                                        ; implicit-def: $vgpr6_vgpr7
                                        ; implicit-def: $vgpr20_vgpr21
	s_and_saveexec_b64 s[2:3], s[4:5]
	s_xor_b64 s[8:9], exec, s[2:3]
	s_cbranch_execz .LBB0_11
; %bb.10:
	s_mov_b32 s2, 0
	s_mov_b32 s3, 0x7b000000
	s_movk_i32 s7, 0xff80
	v_and_b32_e32 v20, 0x7fffffff, v3
	v_ldexp_f64 v[6:7], |v[2:3]|, s7
	v_cmp_ge_f64_e64 vcc, |v[2:3]|, s[2:3]
	s_mov_b32 s2, 0
	s_mov_b32 s3, 0x7ff00000
	v_cndmask_b32_e32 v7, v20, v7, vcc
	v_cndmask_b32_e32 v6, v2, v6, vcc
	v_mul_f64 v[22:23], v[30:31], v[6:7]
	v_mul_f64 v[20:21], v[28:29], v[6:7]
	v_fma_f64 v[24:25], v[30:31], v[6:7], -v[22:23]
	v_add_f64 v[32:33], v[20:21], v[24:25]
	v_add_f64 v[42:43], v[32:33], -v[20:21]
	v_add_f64 v[24:25], v[24:25], -v[42:43]
	;; [unrolled: 1-line block ×4, first 2 shown]
	v_add_f64 v[24:25], v[24:25], v[42:43]
	v_fma_f64 v[20:21], v[28:29], v[6:7], -v[20:21]
	v_mul_f64 v[42:43], v[26:27], v[6:7]
	v_add_f64 v[44:45], v[42:43], v[20:21]
	v_add_f64 v[34:35], v[22:23], v[32:33]
	;; [unrolled: 1-line block ×3, first 2 shown]
	v_ldexp_f64 v[36:37], v[34:35], -2
	v_add_f64 v[22:23], v[34:35], -v[22:23]
	v_add_f64 v[34:35], v[46:47], -v[44:45]
	v_add_f64 v[24:25], v[24:25], -v[34:35]
	v_add_f64 v[34:35], v[46:47], -v[34:35]
	v_add_f64 v[34:35], v[44:45], -v[34:35]
	v_add_f64 v[24:25], v[24:25], v[34:35]
	v_add_f64 v[34:35], v[44:45], -v[42:43]
	v_add_f64 v[20:21], v[20:21], -v[34:35]
	;; [unrolled: 1-line block ×5, first 2 shown]
	v_add_f64 v[20:21], v[20:21], v[34:35]
	v_fract_f64_e32 v[40:41], v[36:37]
	v_add_f64 v[32:33], v[22:23], v[46:47]
	v_add_f64 v[20:21], v[20:21], v[24:25]
	v_fma_f64 v[6:7], v[26:27], v[6:7], -v[42:43]
	v_add_f64 v[22:23], v[32:33], -v[22:23]
	v_add_f64 v[6:7], v[6:7], v[20:21]
	v_ldexp_f64 v[20:21], v[40:41], 2
	v_cmp_neq_f64_e64 vcc, |v[36:37]|, s[2:3]
	v_add_f64 v[22:23], v[46:47], -v[22:23]
	v_add_f64 v[6:7], v[22:23], v[6:7]
	v_cndmask_b32_e32 v21, 0, v21, vcc
	v_cndmask_b32_e32 v20, 0, v20, vcc
	v_add_f64 v[22:23], v[32:33], v[20:21]
	v_mov_b32_e32 v24, 0x40100000
	v_cmp_gt_f64_e32 vcc, 0, v[22:23]
	v_mov_b32_e32 v22, 0
	s_mov_b32 s7, 0x3ff921fb
	v_cndmask_b32_e32 v23, 0, v24, vcc
	v_add_f64 v[20:21], v[20:21], v[22:23]
	v_add_f64 v[24:25], v[32:33], v[20:21]
	v_cvt_i32_f64_e32 v23, v[24:25]
	v_cvt_f64_i32_e32 v[24:25], v23
	v_add_f64 v[20:21], v[20:21], -v[24:25]
	v_add_f64 v[24:25], v[32:33], v[20:21]
	v_add_f64 v[20:21], v[24:25], -v[20:21]
	v_add_f64 v[20:21], v[32:33], -v[20:21]
	v_add_f64 v[6:7], v[6:7], v[20:21]
	v_cmp_le_f64_e32 vcc, 0.5, v[24:25]
	v_mov_b32_e32 v20, 0x3ff00000
	s_nop 0
	v_addc_co_u32_e64 v40, s[2:3], 0, v23, vcc
	v_cndmask_b32_e32 v23, 0, v20, vcc
	v_add_f64 v[20:21], v[24:25], -v[22:23]
	v_add_f64 v[22:23], v[20:21], v[6:7]
	v_add_f64 v[20:21], v[22:23], -v[20:21]
	v_add_f64 v[6:7], v[6:7], -v[20:21]
	v_mul_f64 v[20:21], v[22:23], s[6:7]
	s_mov_b32 s2, 0x33145c07
	v_fma_f64 v[24:25], v[22:23], s[6:7], -v[20:21]
	s_mov_b32 s3, 0x3c91a626
	v_fmac_f64_e32 v[24:25], s[2:3], v[22:23]
	v_fmac_f64_e32 v[24:25], s[6:7], v[6:7]
	v_add_f64 v[6:7], v[20:21], v[24:25]
	v_add_f64 v[20:21], v[6:7], -v[20:21]
	v_add_f64 v[20:21], v[24:25], -v[20:21]
	s_andn2_saveexec_b64 s[2:3], s[8:9]
	s_cbranch_execz .LBB0_13
	s_branch .LBB0_12
.LBB0_11:
	s_andn2_saveexec_b64 s[2:3], s[8:9]
	s_cbranch_execz .LBB0_13
.LBB0_12:
	s_mov_b32 s6, 0x6dc9c883
	s_mov_b32 s7, 0x3fe45f30
	v_mul_f64 v[6:7], |v[2:3]|, s[6:7]
	s_mov_b32 s6, 0x54442d18
	v_rndne_f64_e32 v[22:23], v[6:7]
	s_mov_b32 s7, 0xbff921fb
	v_fma_f64 v[6:7], v[22:23], s[6:7], |v[2:3]|
	s_mov_b32 s7, 0xbc91a626
	s_mov_b32 s6, 0x33145c00
	v_mul_f64 v[24:25], v[22:23], s[6:7]
	v_add_f64 v[34:35], v[6:7], v[24:25]
	v_fma_f64 v[20:21], s[6:7], v[22:23], v[6:7]
	s_mov_b32 s7, 0x3c91a626
	v_add_f64 v[6:7], v[6:7], -v[34:35]
	v_fma_f64 v[32:33], s[6:7], v[22:23], v[24:25]
	v_add_f64 v[6:7], v[6:7], v[24:25]
	v_add_f64 v[24:25], v[34:35], -v[20:21]
	v_add_f64 v[6:7], v[24:25], v[6:7]
	s_mov_b32 s6, 0x252049c0
	v_add_f64 v[24:25], v[6:7], -v[32:33]
	s_mov_b32 s7, 0xb97b839a
	v_fmac_f64_e32 v[24:25], s[6:7], v[22:23]
	v_add_f64 v[6:7], v[20:21], v[24:25]
	v_add_f64 v[20:21], v[6:7], -v[20:21]
	v_add_f64 v[20:21], v[24:25], -v[20:21]
	v_cvt_i32_f64_e32 v40, v[22:23]
.LBB0_13:
	s_or_b64 exec, exec, s[2:3]
                                        ; implicit-def: $vgpr41
                                        ; implicit-def: $vgpr22_vgpr23
                                        ; implicit-def: $vgpr24_vgpr25
	s_and_saveexec_b64 s[2:3], s[4:5]
	s_xor_b64 s[4:5], exec, s[2:3]
	s_cbranch_execz .LBB0_15
; %bb.14:
	s_mov_b32 s2, 0
	s_mov_b32 s3, 0x7b000000
	s_movk_i32 s6, 0xff80
	v_and_b32_e32 v24, 0x7fffffff, v3
	v_ldexp_f64 v[22:23], |v[2:3]|, s6
	v_cmp_ge_f64_e64 vcc, |v[2:3]|, s[2:3]
	s_mov_b32 s2, 0
	s_mov_b32 s3, 0x7ff00000
	v_cndmask_b32_e32 v23, v24, v23, vcc
	v_cndmask_b32_e32 v22, v2, v22, vcc
	v_mul_f64 v[32:33], v[30:31], v[22:23]
	v_mul_f64 v[24:25], v[28:29], v[22:23]
	v_fma_f64 v[30:31], v[30:31], v[22:23], -v[32:33]
	v_add_f64 v[34:35], v[24:25], v[30:31]
	v_add_f64 v[46:47], v[34:35], -v[24:25]
	v_add_f64 v[30:31], v[30:31], -v[46:47]
	;; [unrolled: 1-line block ×4, first 2 shown]
	v_fma_f64 v[24:25], v[28:29], v[22:23], -v[24:25]
	v_mul_f64 v[28:29], v[26:27], v[22:23]
	v_add_f64 v[30:31], v[30:31], v[46:47]
	v_add_f64 v[46:47], v[28:29], v[24:25]
	;; [unrolled: 1-line block ×4, first 2 shown]
	v_ldexp_f64 v[42:43], v[36:37], -2
	v_add_f64 v[32:33], v[36:37], -v[32:33]
	v_add_f64 v[36:37], v[48:49], -v[46:47]
	v_add_f64 v[30:31], v[30:31], -v[36:37]
	v_add_f64 v[36:37], v[48:49], -v[36:37]
	v_add_f64 v[36:37], v[46:47], -v[36:37]
	v_add_f64 v[30:31], v[30:31], v[36:37]
	v_add_f64 v[36:37], v[46:47], -v[28:29]
	v_add_f64 v[24:25], v[24:25], -v[36:37]
	;; [unrolled: 1-line block ×4, first 2 shown]
	v_add_f64 v[24:25], v[24:25], v[36:37]
	v_fract_f64_e32 v[44:45], v[42:43]
	v_add_f64 v[24:25], v[24:25], v[30:31]
	v_fma_f64 v[22:23], v[26:27], v[22:23], -v[28:29]
	v_add_f64 v[32:33], v[34:35], -v[32:33]
	v_add_f64 v[22:23], v[22:23], v[24:25]
	v_ldexp_f64 v[24:25], v[44:45], 2
	v_cmp_neq_f64_e64 vcc, |v[42:43]|, s[2:3]
	v_add_f64 v[34:35], v[32:33], v[48:49]
	v_mov_b32_e32 v28, 0x40100000
	v_cndmask_b32_e32 v25, 0, v25, vcc
	v_cndmask_b32_e32 v24, 0, v24, vcc
	v_add_f64 v[26:27], v[34:35], v[24:25]
	v_cmp_gt_f64_e32 vcc, 0, v[26:27]
	v_mov_b32_e32 v26, 0
	v_add_f64 v[32:33], v[34:35], -v[32:33]
	v_cndmask_b32_e32 v27, 0, v28, vcc
	v_add_f64 v[24:25], v[24:25], v[26:27]
	v_add_f64 v[28:29], v[34:35], v[24:25]
	v_cvt_i32_f64_e32 v27, v[28:29]
	v_cvt_f64_i32_e32 v[28:29], v27
	v_add_f64 v[24:25], v[24:25], -v[28:29]
	v_add_f64 v[28:29], v[34:35], v[24:25]
	v_add_f64 v[32:33], v[48:49], -v[32:33]
	v_add_f64 v[24:25], v[28:29], -v[24:25]
	v_add_f64 v[22:23], v[32:33], v[22:23]
	v_add_f64 v[24:25], v[34:35], -v[24:25]
	v_add_f64 v[22:23], v[22:23], v[24:25]
	v_cmp_le_f64_e32 vcc, 0.5, v[28:29]
	v_mov_b32_e32 v24, 0x3ff00000
	s_mov_b32 s6, 0x33145c07
	v_addc_co_u32_e64 v41, s[2:3], 0, v27, vcc
	v_cndmask_b32_e32 v27, 0, v24, vcc
	v_add_f64 v[24:25], v[28:29], -v[26:27]
	v_add_f64 v[26:27], v[24:25], v[22:23]
	s_mov_b32 s2, 0x54442d18
	v_add_f64 v[24:25], v[26:27], -v[24:25]
	s_mov_b32 s3, 0x3ff921fb
	v_add_f64 v[22:23], v[22:23], -v[24:25]
	v_mul_f64 v[24:25], v[26:27], s[2:3]
	v_fma_f64 v[28:29], v[26:27], s[2:3], -v[24:25]
	s_mov_b32 s7, 0x3c91a626
	v_fmac_f64_e32 v[28:29], s[6:7], v[26:27]
	v_fmac_f64_e32 v[28:29], s[2:3], v[22:23]
	v_add_f64 v[22:23], v[24:25], v[28:29]
	v_add_f64 v[24:25], v[22:23], -v[24:25]
	v_add_f64 v[24:25], v[28:29], -v[24:25]
	s_andn2_saveexec_b64 s[2:3], s[4:5]
	s_cbranch_execnz .LBB0_16
	s_branch .LBB0_17
.LBB0_15:
	s_andn2_saveexec_b64 s[2:3], s[4:5]
	s_cbranch_execz .LBB0_17
.LBB0_16:
	s_mov_b32 s4, 0x6dc9c883
	s_mov_b32 s5, 0x3fe45f30
	v_mul_f64 v[22:23], |v[2:3]|, s[4:5]
	s_mov_b32 s4, 0x54442d18
	v_rndne_f64_e32 v[26:27], v[22:23]
	s_mov_b32 s5, 0xbff921fb
	v_fma_f64 v[22:23], v[26:27], s[4:5], |v[2:3]|
	s_mov_b32 s5, 0xbc91a626
	s_mov_b32 s4, 0x33145c00
	v_mul_f64 v[28:29], v[26:27], s[4:5]
	v_add_f64 v[32:33], v[22:23], v[28:29]
	v_fma_f64 v[24:25], s[4:5], v[26:27], v[22:23]
	s_mov_b32 s5, 0x3c91a626
	v_add_f64 v[22:23], v[22:23], -v[32:33]
	v_fma_f64 v[30:31], s[4:5], v[26:27], v[28:29]
	v_add_f64 v[22:23], v[22:23], v[28:29]
	v_add_f64 v[28:29], v[32:33], -v[24:25]
	v_add_f64 v[22:23], v[28:29], v[22:23]
	s_mov_b32 s4, 0x252049c0
	v_add_f64 v[28:29], v[22:23], -v[30:31]
	s_mov_b32 s5, 0xb97b839a
	v_fmac_f64_e32 v[28:29], s[4:5], v[26:27]
	v_add_f64 v[22:23], v[24:25], v[28:29]
	v_add_f64 v[24:25], v[22:23], -v[24:25]
	v_add_f64 v[24:25], v[28:29], -v[24:25]
	v_cvt_i32_f64_e32 v41, v[26:27]
.LBB0_17:
	s_or_b64 exec, exec, s[2:3]
	s_mov_b32 s2, 0
	s_mov_b32 s3, 0x41d00000
	v_cmp_nlt_f64_e64 s[2:3], |v[10:11]|, s[2:3]
                                        ; implicit-def: $vgpr43
                                        ; implicit-def: $vgpr30_vgpr31
                                        ; implicit-def: $vgpr32_vgpr33
	s_and_saveexec_b64 s[4:5], s[2:3]
	s_xor_b64 s[4:5], exec, s[4:5]
	s_cbranch_execz .LBB0_19
; %bb.18:
	s_mov_b32 s2, 0
	s_mov_b32 s3, 0x7b000000
	s_movk_i32 s6, 0xff80
	v_and_b32_e32 v32, 0x7fffffff, v11
	v_ldexp_f64 v[30:31], |v[10:11]|, s6
	v_cmp_ge_f64_e64 vcc, |v[10:11]|, s[2:3]
	v_trig_preop_f64 v[26:27], |v[10:11]|, 0
	v_trig_preop_f64 v[28:29], |v[10:11]|, 1
	v_cndmask_b32_e32 v31, v32, v31, vcc
	v_cndmask_b32_e32 v30, v10, v30, vcc
	v_mul_f64 v[34:35], v[26:27], v[30:31]
	v_mul_f64 v[32:33], v[28:29], v[30:31]
	v_fma_f64 v[26:27], v[26:27], v[30:31], -v[34:35]
	v_add_f64 v[36:37], v[32:33], v[26:27]
	v_add_f64 v[48:49], v[36:37], -v[32:33]
	v_add_f64 v[26:27], v[26:27], -v[48:49]
	;; [unrolled: 1-line block ×4, first 2 shown]
	v_fma_f64 v[28:29], v[28:29], v[30:31], -v[32:33]
	v_trig_preop_f64 v[32:33], |v[10:11]|, 2
	v_add_f64 v[26:27], v[26:27], v[48:49]
	v_mul_f64 v[48:49], v[32:33], v[30:31]
	v_add_f64 v[50:51], v[48:49], v[28:29]
	v_add_f64 v[42:43], v[34:35], v[36:37]
	v_add_f64 v[52:53], v[50:51], v[26:27]
	v_ldexp_f64 v[44:45], v[42:43], -2
	v_add_f64 v[34:35], v[42:43], -v[34:35]
	v_add_f64 v[42:43], v[52:53], -v[50:51]
	;; [unrolled: 1-line block ×5, first 2 shown]
	v_add_f64 v[26:27], v[26:27], v[42:43]
	v_add_f64 v[42:43], v[50:51], -v[48:49]
	v_add_f64 v[28:29], v[28:29], -v[42:43]
	;; [unrolled: 1-line block ×4, first 2 shown]
	v_add_f64 v[28:29], v[28:29], v[42:43]
	s_mov_b32 s2, 0
	v_fract_f64_e32 v[46:47], v[44:45]
	v_add_f64 v[26:27], v[28:29], v[26:27]
	v_fma_f64 v[28:29], v[32:33], v[30:31], -v[48:49]
	s_mov_b32 s3, 0x7ff00000
	v_add_f64 v[34:35], v[36:37], -v[34:35]
	v_add_f64 v[26:27], v[28:29], v[26:27]
	v_ldexp_f64 v[28:29], v[46:47], 2
	v_cmp_neq_f64_e64 vcc, |v[44:45]|, s[2:3]
	v_add_f64 v[36:37], v[34:35], v[52:53]
	v_mov_b32_e32 v32, 0x40100000
	v_cndmask_b32_e32 v29, 0, v29, vcc
	v_cndmask_b32_e32 v28, 0, v28, vcc
	v_add_f64 v[30:31], v[36:37], v[28:29]
	v_cmp_gt_f64_e32 vcc, 0, v[30:31]
	v_mov_b32_e32 v30, 0
	v_add_f64 v[34:35], v[36:37], -v[34:35]
	v_cndmask_b32_e32 v31, 0, v32, vcc
	v_add_f64 v[28:29], v[28:29], v[30:31]
	v_add_f64 v[32:33], v[36:37], v[28:29]
	v_cvt_i32_f64_e32 v31, v[32:33]
	v_cvt_f64_i32_e32 v[32:33], v31
	v_add_f64 v[28:29], v[28:29], -v[32:33]
	v_add_f64 v[32:33], v[36:37], v[28:29]
	v_add_f64 v[34:35], v[52:53], -v[34:35]
	v_add_f64 v[28:29], v[32:33], -v[28:29]
	v_add_f64 v[26:27], v[34:35], v[26:27]
	v_add_f64 v[28:29], v[36:37], -v[28:29]
	v_add_f64 v[26:27], v[26:27], v[28:29]
	v_cmp_le_f64_e32 vcc, 0.5, v[32:33]
	v_mov_b32_e32 v28, 0x3ff00000
	s_mov_b32 s6, 0x33145c07
	v_addc_co_u32_e64 v43, s[2:3], 0, v31, vcc
	v_cndmask_b32_e32 v31, 0, v28, vcc
	v_add_f64 v[28:29], v[32:33], -v[30:31]
	v_add_f64 v[30:31], v[28:29], v[26:27]
	s_mov_b32 s2, 0x54442d18
	v_add_f64 v[28:29], v[30:31], -v[28:29]
	s_mov_b32 s3, 0x3ff921fb
	v_add_f64 v[26:27], v[26:27], -v[28:29]
	v_mul_f64 v[28:29], v[30:31], s[2:3]
	v_fma_f64 v[32:33], v[30:31], s[2:3], -v[28:29]
	s_mov_b32 s7, 0x3c91a626
	v_fmac_f64_e32 v[32:33], s[6:7], v[30:31]
	v_fmac_f64_e32 v[32:33], s[2:3], v[26:27]
	v_add_f64 v[30:31], v[28:29], v[32:33]
	v_add_f64 v[26:27], v[30:31], -v[28:29]
	v_add_f64 v[32:33], v[32:33], -v[26:27]
.LBB0_19:
	s_andn2_saveexec_b64 s[2:3], s[4:5]
	s_cbranch_execz .LBB0_21
; %bb.20:
	s_mov_b32 s4, 0x6dc9c883
	s_mov_b32 s5, 0x3fe45f30
	v_mul_f64 v[26:27], |v[10:11]|, s[4:5]
	s_mov_b32 s4, 0x54442d18
	v_rndne_f64_e32 v[26:27], v[26:27]
	s_mov_b32 s5, 0xbff921fb
	v_fma_f64 v[28:29], v[26:27], s[4:5], |v[10:11]|
	s_mov_b32 s5, 0xbc91a626
	s_mov_b32 s4, 0x33145c00
	v_mul_f64 v[30:31], v[26:27], s[4:5]
	v_add_f64 v[36:37], v[28:29], v[30:31]
	v_fma_f64 v[32:33], s[4:5], v[26:27], v[28:29]
	s_mov_b32 s5, 0x3c91a626
	v_add_f64 v[28:29], v[28:29], -v[36:37]
	v_fma_f64 v[34:35], s[4:5], v[26:27], v[30:31]
	v_add_f64 v[28:29], v[28:29], v[30:31]
	v_add_f64 v[30:31], v[36:37], -v[32:33]
	v_add_f64 v[28:29], v[30:31], v[28:29]
	s_mov_b32 s4, 0x252049c0
	v_add_f64 v[28:29], v[28:29], -v[34:35]
	s_mov_b32 s5, 0xb97b839a
	v_fmac_f64_e32 v[28:29], s[4:5], v[26:27]
	v_add_f64 v[30:31], v[32:33], v[28:29]
	v_add_f64 v[32:33], v[30:31], -v[32:33]
	v_add_f64 v[32:33], v[28:29], -v[32:33]
	v_cvt_i32_f64_e32 v43, v[26:27]
.LBB0_21:
	s_or_b64 exec, exec, s[2:3]
	s_mov_b32 s2, 0
	s_mov_b32 s3, 0x41d00000
	v_cmp_nlt_f64_e64 s[2:3], |v[0:1]|, s[2:3]
                                        ; implicit-def: $vgpr42
                                        ; implicit-def: $vgpr26_vgpr27
                                        ; implicit-def: $vgpr28_vgpr29
	s_and_saveexec_b64 s[4:5], s[2:3]
	s_xor_b64 s[4:5], exec, s[4:5]
	s_cbranch_execz .LBB0_23
; %bb.22:
	s_mov_b32 s2, 0
	s_mov_b32 s3, 0x7b000000
	s_movk_i32 s6, 0xff80
	v_and_b32_e32 v36, 0x7fffffff, v1
	v_ldexp_f64 v[34:35], |v[0:1]|, s6
	v_cmp_ge_f64_e64 vcc, |v[0:1]|, s[2:3]
	v_trig_preop_f64 v[26:27], |v[0:1]|, 0
	v_trig_preop_f64 v[28:29], |v[0:1]|, 1
	v_cndmask_b32_e32 v35, v36, v35, vcc
	v_cndmask_b32_e32 v34, v0, v34, vcc
	v_mul_f64 v[44:45], v[26:27], v[34:35]
	v_mul_f64 v[36:37], v[28:29], v[34:35]
	v_fma_f64 v[26:27], v[26:27], v[34:35], -v[44:45]
	v_add_f64 v[46:47], v[36:37], v[26:27]
	v_add_f64 v[54:55], v[46:47], -v[36:37]
	v_add_f64 v[26:27], v[26:27], -v[54:55]
	;; [unrolled: 1-line block ×4, first 2 shown]
	v_fma_f64 v[28:29], v[28:29], v[34:35], -v[36:37]
	v_trig_preop_f64 v[36:37], |v[0:1]|, 2
	v_add_f64 v[26:27], v[26:27], v[54:55]
	v_mul_f64 v[54:55], v[36:37], v[34:35]
	v_add_f64 v[56:57], v[54:55], v[28:29]
	v_add_f64 v[48:49], v[44:45], v[46:47]
	;; [unrolled: 1-line block ×3, first 2 shown]
	v_ldexp_f64 v[50:51], v[48:49], -2
	v_add_f64 v[44:45], v[48:49], -v[44:45]
	v_add_f64 v[48:49], v[58:59], -v[56:57]
	;; [unrolled: 1-line block ×5, first 2 shown]
	v_add_f64 v[26:27], v[26:27], v[48:49]
	v_add_f64 v[48:49], v[56:57], -v[54:55]
	v_add_f64 v[28:29], v[28:29], -v[48:49]
	;; [unrolled: 1-line block ×4, first 2 shown]
	v_add_f64 v[28:29], v[28:29], v[48:49]
	s_mov_b32 s2, 0
	v_fract_f64_e32 v[52:53], v[50:51]
	v_add_f64 v[26:27], v[28:29], v[26:27]
	v_fma_f64 v[28:29], v[36:37], v[34:35], -v[54:55]
	s_mov_b32 s3, 0x7ff00000
	v_add_f64 v[44:45], v[46:47], -v[44:45]
	v_add_f64 v[26:27], v[28:29], v[26:27]
	v_ldexp_f64 v[28:29], v[52:53], 2
	v_cmp_neq_f64_e64 vcc, |v[50:51]|, s[2:3]
	v_add_f64 v[46:47], v[44:45], v[58:59]
	v_mov_b32_e32 v36, 0x40100000
	v_cndmask_b32_e32 v29, 0, v29, vcc
	v_cndmask_b32_e32 v28, 0, v28, vcc
	v_add_f64 v[34:35], v[46:47], v[28:29]
	v_cmp_gt_f64_e32 vcc, 0, v[34:35]
	v_mov_b32_e32 v34, 0
	v_add_f64 v[44:45], v[46:47], -v[44:45]
	v_cndmask_b32_e32 v35, 0, v36, vcc
	v_add_f64 v[28:29], v[28:29], v[34:35]
	v_add_f64 v[36:37], v[46:47], v[28:29]
	v_cvt_i32_f64_e32 v35, v[36:37]
	v_cvt_f64_i32_e32 v[36:37], v35
	v_add_f64 v[28:29], v[28:29], -v[36:37]
	v_add_f64 v[36:37], v[46:47], v[28:29]
	v_add_f64 v[44:45], v[58:59], -v[44:45]
	v_add_f64 v[28:29], v[36:37], -v[28:29]
	v_add_f64 v[26:27], v[44:45], v[26:27]
	v_add_f64 v[28:29], v[46:47], -v[28:29]
	v_add_f64 v[26:27], v[26:27], v[28:29]
	v_cmp_le_f64_e32 vcc, 0.5, v[36:37]
	v_mov_b32_e32 v28, 0x3ff00000
	s_mov_b32 s6, 0x33145c07
	v_addc_co_u32_e64 v42, s[2:3], 0, v35, vcc
	v_cndmask_b32_e32 v35, 0, v28, vcc
	v_add_f64 v[28:29], v[36:37], -v[34:35]
	v_add_f64 v[34:35], v[28:29], v[26:27]
	s_mov_b32 s2, 0x54442d18
	v_add_f64 v[28:29], v[34:35], -v[28:29]
	s_mov_b32 s3, 0x3ff921fb
	v_add_f64 v[26:27], v[26:27], -v[28:29]
	v_mul_f64 v[28:29], v[34:35], s[2:3]
	v_fma_f64 v[36:37], v[34:35], s[2:3], -v[28:29]
	s_mov_b32 s7, 0x3c91a626
	v_fmac_f64_e32 v[36:37], s[6:7], v[34:35]
	v_fmac_f64_e32 v[36:37], s[2:3], v[26:27]
	v_add_f64 v[26:27], v[28:29], v[36:37]
	v_add_f64 v[28:29], v[26:27], -v[28:29]
	v_add_f64 v[28:29], v[36:37], -v[28:29]
.LBB0_23:
	s_or_saveexec_b64 s[4:5], s[4:5]
	s_load_dwordx2 s[2:3], s[0:1], 0x8
	s_xor_b64 exec, exec, s[4:5]
	s_cbranch_execz .LBB0_25
; %bb.24:
	s_mov_b32 s0, 0x6dc9c883
	s_mov_b32 s1, 0x3fe45f30
	v_mul_f64 v[26:27], |v[0:1]|, s[0:1]
	s_mov_b32 s0, 0x54442d18
	v_rndne_f64_e32 v[34:35], v[26:27]
	s_mov_b32 s1, 0xbff921fb
	v_fma_f64 v[26:27], v[34:35], s[0:1], |v[0:1]|
	s_mov_b32 s1, 0xbc91a626
	s_mov_b32 s0, 0x33145c00
	v_mul_f64 v[36:37], v[34:35], s[0:1]
	v_add_f64 v[46:47], v[26:27], v[36:37]
	v_fma_f64 v[28:29], s[0:1], v[34:35], v[26:27]
	s_mov_b32 s1, 0x3c91a626
	v_add_f64 v[26:27], v[26:27], -v[46:47]
	v_fma_f64 v[44:45], s[0:1], v[34:35], v[36:37]
	v_add_f64 v[26:27], v[26:27], v[36:37]
	v_add_f64 v[36:37], v[46:47], -v[28:29]
	v_add_f64 v[26:27], v[36:37], v[26:27]
	s_mov_b32 s0, 0x252049c0
	v_add_f64 v[36:37], v[26:27], -v[44:45]
	s_mov_b32 s1, 0xb97b839a
	v_fmac_f64_e32 v[36:37], s[0:1], v[34:35]
	v_add_f64 v[26:27], v[28:29], v[36:37]
	v_add_f64 v[28:29], v[26:27], -v[28:29]
	v_add_f64 v[28:29], v[36:37], -v[28:29]
	v_cvt_i32_f64_e32 v42, v[34:35]
.LBB0_25:
	s_or_b64 exec, exec, s[4:5]
	v_mul_f64 v[44:45], v[30:31], v[30:31]
	v_mul_f64 v[34:35], v[44:45], -0.5
	v_add_f64 v[36:37], v[34:35], 1.0
	s_mov_b32 s0, 0x9037ab78
	v_add_f64 v[46:47], -v[36:37], 1.0
	s_mov_b32 s1, 0x3e21eeb6
	s_mov_b32 s4, 0x46cc5e42
	v_add_f64 v[46:47], v[46:47], v[34:35]
	s_mov_b32 s5, 0xbda907db
	v_mov_b64_e32 v[34:35], s[0:1]
	s_mov_b32 s6, 0xa17f65f6
	v_fma_f64 v[50:51], s[4:5], v[44:45], v[34:35]
	s_mov_b32 s7, 0xbe927e4f
	s_mov_b32 s8, 0x19f4ec90
	v_fma_f64 v[50:51], v[44:45], v[50:51], s[6:7]
	s_mov_b32 s9, 0x3efa01a0
	;; [unrolled: 3-line block ×4, first 2 shown]
	v_mul_f64 v[48:49], v[44:45], v[44:45]
	v_fma_f64 v[50:51], v[44:45], v[50:51], s[12:13]
	v_fma_f64 v[46:47], v[30:31], -v[32:33], v[46:47]
	s_mov_b32 s0, 0xb42fdfa7
	v_fmac_f64_e32 v[46:47], v[48:49], v[50:51]
	s_mov_b32 s1, 0xbe5ae600
	s_mov_b32 s14, 0xf9a43bb8
	v_add_f64 v[46:47], v[36:37], v[46:47]
	s_mov_b32 s15, 0x3de5e0b2
	v_mov_b64_e32 v[36:37], s[0:1]
	s_mov_b32 s16, 0x796cde01
	v_fma_f64 v[48:49], s[14:15], v[44:45], v[36:37]
	s_mov_b32 s17, 0x3ec71de3
	s_mov_b32 s18, 0x19e83e5c
	v_fma_f64 v[48:49], v[44:45], v[48:49], s[16:17]
	s_mov_b32 s19, 0xbf2a01a0
	;; [unrolled: 3-line block ×3, first 2 shown]
	v_fma_f64 v[48:49], v[44:45], v[48:49], s[20:21]
	v_mul_f64 v[50:51], v[30:31], -v[44:45]
	v_mul_f64 v[52:53], v[32:33], 0.5
	v_fmac_f64_e32 v[52:53], v[50:51], v[48:49]
	v_fma_f64 v[32:33], v[44:45], v[52:53], -v[32:33]
	s_mov_b32 s23, 0xbfc55555
	s_mov_b32 s22, s12
	v_fmac_f64_e32 v[32:33], s[22:23], v[50:51]
	v_add_f64 v[30:31], v[30:31], -v[32:33]
	v_and_b32_e32 v32, 1, v43
	v_xor_b32_e32 v31, 0x80000000, v31
	v_cmp_eq_u32_e32 vcc, 0, v32
	s_brev_b32 s24, 1
	v_lshlrev_b32_e32 v32, 30, v43
	v_cndmask_b32_e32 v31, v31, v47, vcc
	s_movk_i32 s25, 0x1f8
	v_cndmask_b32_e32 v30, v30, v46, vcc
	v_bitop3_b32 v31, v31, v32, s24 bitop3:0x78
	v_cmp_class_f64_e64 vcc, v[10:11], s25
	v_mov_b32_e32 v43, 0x7ff80000
	s_nop 0
	v_cndmask_b32_e32 v10, 0, v30, vcc
	v_cndmask_b32_e32 v11, v43, v31, vcc
	v_mul_f64 v[30:31], v[6:7], v[6:7]
	v_mul_f64 v[32:33], v[30:31], -0.5
	v_fma_f64 v[48:49], s[4:5], v[30:31], v[34:35]
	v_add_f64 v[44:45], v[32:33], 1.0
	v_fma_f64 v[48:49], v[30:31], v[48:49], s[6:7]
	v_add_f64 v[46:47], -v[44:45], 1.0
	v_fma_f64 v[48:49], v[30:31], v[48:49], s[8:9]
	v_add_f64 v[32:33], v[46:47], v[32:33]
	v_fma_f64 v[48:49], v[30:31], v[48:49], s[10:11]
	v_mul_f64 v[46:47], v[30:31], v[30:31]
	v_fma_f64 v[48:49], v[30:31], v[48:49], s[12:13]
	v_fma_f64 v[32:33], v[6:7], -v[20:21], v[32:33]
	v_fmac_f64_e32 v[32:33], v[46:47], v[48:49]
	v_add_f64 v[32:33], v[44:45], v[32:33]
	v_fma_f64 v[44:45], s[14:15], v[30:31], v[36:37]
	v_fma_f64 v[44:45], v[30:31], v[44:45], s[16:17]
	;; [unrolled: 1-line block ×4, first 2 shown]
	v_mul_f64 v[46:47], v[6:7], -v[30:31]
	v_mul_f64 v[48:49], v[20:21], 0.5
	v_fmac_f64_e32 v[48:49], v[46:47], v[44:45]
	v_fma_f64 v[20:21], v[30:31], v[48:49], -v[20:21]
	v_fmac_f64_e32 v[20:21], s[22:23], v[46:47]
	v_add_f64 v[6:7], v[6:7], -v[20:21]
	v_and_b32_e32 v20, 1, v40
	v_cmp_eq_u32_e32 vcc, 0, v20
	v_lshlrev_b32_e32 v20, 30, v40
	v_xor_b32_e32 v20, v20, v3
	v_cndmask_b32_e32 v7, v33, v7, vcc
	v_bitop3_b32 v7, v7, v20, s24 bitop3:0x78
	v_mul_f64 v[20:21], v[22:23], v[22:23]
	v_mul_f64 v[30:31], v[20:21], -0.5
	v_fma_f64 v[46:47], s[4:5], v[20:21], v[34:35]
	v_cndmask_b32_e32 v6, v32, v6, vcc
	v_add_f64 v[32:33], v[30:31], 1.0
	v_fma_f64 v[46:47], v[20:21], v[46:47], s[6:7]
	v_add_f64 v[44:45], -v[32:33], 1.0
	v_fma_f64 v[46:47], v[20:21], v[46:47], s[8:9]
	v_add_f64 v[30:31], v[44:45], v[30:31]
	v_fma_f64 v[46:47], v[20:21], v[46:47], s[10:11]
	v_mul_f64 v[44:45], v[20:21], v[20:21]
	v_fma_f64 v[46:47], v[20:21], v[46:47], s[12:13]
	v_fma_f64 v[30:31], v[22:23], -v[24:25], v[30:31]
	v_fmac_f64_e32 v[30:31], v[44:45], v[46:47]
	v_add_f64 v[30:31], v[32:33], v[30:31]
	v_fma_f64 v[32:33], s[14:15], v[20:21], v[36:37]
	v_fma_f64 v[32:33], v[20:21], v[32:33], s[16:17]
	;; [unrolled: 1-line block ×4, first 2 shown]
	v_mul_f64 v[44:45], v[22:23], -v[20:21]
	v_mul_f64 v[46:47], v[24:25], 0.5
	v_fmac_f64_e32 v[46:47], v[44:45], v[32:33]
	v_fma_f64 v[20:21], v[20:21], v[46:47], -v[24:25]
	v_cmp_class_f64_e64 vcc, v[2:3], s25
	v_fmac_f64_e32 v[20:21], s[22:23], v[44:45]
	v_and_b32_e32 v2, 1, v41
	v_add_f64 v[20:21], v[22:23], -v[20:21]
	v_cmp_eq_u32_e64 s[0:1], 0, v2
	v_cndmask_b32_e32 v6, 0, v6, vcc
	v_cndmask_b32_e32 v7, v43, v7, vcc
	v_cndmask_b32_e64 v2, v30, v20, s[0:1]
	v_cndmask_b32_e64 v20, v31, v21, s[0:1]
	v_lshlrev_b32_e32 v21, 30, v41
	v_xor_b32_e32 v3, v21, v3
	v_bitop3_b32 v3, v20, v3, s24 bitop3:0x78
	v_cndmask_b32_e32 v2, 0, v2, vcc
	v_cndmask_b32_e32 v3, v43, v3, vcc
	v_mul_f64 v[2:3], v[6:7], v[2:3]
	v_mul_f64 v[6:7], v[12:13], v[12:13]
	v_mul_f64 v[20:21], v[6:7], -0.5
	v_fma_f64 v[30:31], s[4:5], v[6:7], v[34:35]
	v_add_f64 v[22:23], v[20:21], 1.0
	v_fma_f64 v[30:31], v[6:7], v[30:31], s[6:7]
	v_add_f64 v[24:25], -v[22:23], 1.0
	v_fma_f64 v[30:31], v[6:7], v[30:31], s[8:9]
	v_add_f64 v[20:21], v[24:25], v[20:21]
	v_fma_f64 v[30:31], v[6:7], v[30:31], s[10:11]
	v_mul_f64 v[24:25], v[6:7], v[6:7]
	v_fma_f64 v[30:31], v[6:7], v[30:31], s[12:13]
	v_fma_f64 v[20:21], v[12:13], -v[14:15], v[20:21]
	v_fmac_f64_e32 v[20:21], v[24:25], v[30:31]
	v_add_f64 v[20:21], v[22:23], v[20:21]
	v_fma_f64 v[22:23], s[14:15], v[6:7], v[36:37]
	v_fma_f64 v[22:23], v[6:7], v[22:23], s[16:17]
	;; [unrolled: 1-line block ×4, first 2 shown]
	v_mul_f64 v[24:25], v[12:13], -v[6:7]
	v_mul_f64 v[30:31], v[14:15], 0.5
	v_fmac_f64_e32 v[30:31], v[24:25], v[22:23]
	v_fma_f64 v[6:7], v[6:7], v[30:31], -v[14:15]
	v_fmac_f64_e32 v[6:7], s[22:23], v[24:25]
	v_add_f64 v[6:7], v[12:13], -v[6:7]
	v_and_b32_e32 v12, 1, v38
	v_cmp_eq_u32_e32 vcc, 0, v12
	v_lshlrev_b32_e32 v12, 30, v38
	v_xor_b32_e32 v12, v12, v5
	v_cndmask_b32_e32 v7, v21, v7, vcc
	v_bitop3_b32 v7, v7, v12, s24 bitop3:0x78
	v_mul_f64 v[12:13], v[16:17], v[16:17]
	v_mul_f64 v[14:15], v[12:13], -0.5
	v_fma_f64 v[24:25], s[4:5], v[12:13], v[34:35]
	v_cndmask_b32_e32 v6, v20, v6, vcc
	v_add_f64 v[20:21], v[14:15], 1.0
	v_fma_f64 v[24:25], v[12:13], v[24:25], s[6:7]
	v_add_f64 v[22:23], -v[20:21], 1.0
	v_fma_f64 v[24:25], v[12:13], v[24:25], s[8:9]
	v_add_f64 v[14:15], v[22:23], v[14:15]
	v_fma_f64 v[24:25], v[12:13], v[24:25], s[10:11]
	v_mul_f64 v[22:23], v[12:13], v[12:13]
	v_fma_f64 v[24:25], v[12:13], v[24:25], s[12:13]
	v_fma_f64 v[14:15], v[16:17], -v[18:19], v[14:15]
	v_fmac_f64_e32 v[14:15], v[22:23], v[24:25]
	v_add_f64 v[14:15], v[20:21], v[14:15]
	v_fma_f64 v[20:21], s[14:15], v[12:13], v[36:37]
	v_fma_f64 v[20:21], v[12:13], v[20:21], s[16:17]
	;; [unrolled: 1-line block ×4, first 2 shown]
	v_mul_f64 v[22:23], v[16:17], -v[12:13]
	v_mul_f64 v[24:25], v[18:19], 0.5
	v_fmac_f64_e32 v[24:25], v[22:23], v[20:21]
	v_fma_f64 v[12:13], v[12:13], v[24:25], -v[18:19]
	v_cmp_class_f64_e64 vcc, v[4:5], s25
	v_fmac_f64_e32 v[12:13], s[22:23], v[22:23]
	v_and_b32_e32 v4, 1, v39
	v_add_f64 v[12:13], v[16:17], -v[12:13]
	v_cmp_eq_u32_e64 s[0:1], 0, v4
	v_cndmask_b32_e32 v6, 0, v6, vcc
	v_cndmask_b32_e32 v7, v43, v7, vcc
	v_cndmask_b32_e64 v4, v14, v12, s[0:1]
	v_cndmask_b32_e64 v12, v15, v13, s[0:1]
	v_lshlrev_b32_e32 v13, 30, v39
	v_xor_b32_e32 v5, v13, v5
	v_bitop3_b32 v5, v12, v5, s24 bitop3:0x78
	v_mul_f64 v[12:13], v[26:27], v[26:27]
	v_mul_f64 v[14:15], v[12:13], -0.5
	v_fmac_f64_e32 v[34:35], s[4:5], v[12:13]
	v_add_f64 v[16:17], v[14:15], 1.0
	v_fma_f64 v[20:21], v[12:13], v[34:35], s[6:7]
	v_add_f64 v[18:19], -v[16:17], 1.0
	v_fma_f64 v[20:21], v[12:13], v[20:21], s[8:9]
	v_add_f64 v[14:15], v[18:19], v[14:15]
	v_fma_f64 v[20:21], v[12:13], v[20:21], s[10:11]
	v_mul_f64 v[18:19], v[12:13], v[12:13]
	v_fma_f64 v[20:21], v[12:13], v[20:21], s[12:13]
	v_fma_f64 v[14:15], v[26:27], -v[28:29], v[14:15]
	v_fmac_f64_e32 v[14:15], v[18:19], v[20:21]
	v_fmac_f64_e32 v[36:37], s[14:15], v[12:13]
	v_add_f64 v[14:15], v[16:17], v[14:15]
	v_fma_f64 v[16:17], v[12:13], v[36:37], s[16:17]
	v_fma_f64 v[16:17], v[12:13], v[16:17], s[18:19]
	;; [unrolled: 1-line block ×3, first 2 shown]
	v_mul_f64 v[18:19], v[26:27], -v[12:13]
	v_mul_f64 v[20:21], v[28:29], 0.5
	v_fmac_f64_e32 v[20:21], v[18:19], v[16:17]
	v_fma_f64 v[12:13], v[12:13], v[20:21], -v[28:29]
	v_fmac_f64_e32 v[12:13], s[22:23], v[18:19]
	v_add_f64 v[12:13], v[26:27], -v[12:13]
	v_and_b32_e32 v16, 1, v42
	v_cndmask_b32_e32 v4, 0, v4, vcc
	v_cndmask_b32_e32 v5, v43, v5, vcc
	v_xor_b32_e32 v13, 0x80000000, v13
	v_cmp_eq_u32_e32 vcc, 0, v16
	s_mov_b32 s0, 0
	s_brev_b32 s1, 8
	v_cndmask_b32_e32 v12, v12, v14, vcc
	v_cndmask_b32_e32 v13, v13, v15, vcc
	v_lshlrev_b32_e32 v14, 30, v42
	v_bitop3_b32 v13, v13, v14, s24 bitop3:0x78
	v_cmp_class_f64_e64 vcc, v[0:1], s25
	s_nop 1
	v_cndmask_b32_e32 v0, 0, v12, vcc
	v_cndmask_b32_e32 v1, v43, v13, vcc
	v_mul_f64 v[0:1], v[10:11], v[0:1]
	v_mul_f64 v[0:1], v[2:3], v[0:1]
	v_fmac_f64_e32 v[0:1], v[6:7], v[4:5]
	v_mov_b32_e32 v2, 0x100
	v_cmp_gt_f64_e32 vcc, s[0:1], v[0:1]
	s_mov_b32 s0, 0x9fea6a70
	s_mov_b32 s1, 0x3fa05985
	v_cndmask_b32_e32 v2, 0, v2, vcc
	v_ldexp_f64 v[0:1], v[0:1], v2
	v_rsq_f64_e32 v[2:3], v[0:1]
	s_nop 0
	v_mul_f64 v[4:5], v[0:1], v[2:3]
	v_mul_f64 v[2:3], v[2:3], 0.5
	v_fma_f64 v[6:7], -v[2:3], v[4:5], 0.5
	v_fmac_f64_e32 v[4:5], v[4:5], v[6:7]
	v_fma_f64 v[10:11], -v[4:5], v[4:5], v[0:1]
	v_fmac_f64_e32 v[2:3], v[2:3], v[6:7]
	v_fmac_f64_e32 v[4:5], v[10:11], v[2:3]
	v_fma_f64 v[6:7], -v[4:5], v[4:5], v[0:1]
	v_fmac_f64_e32 v[4:5], v[6:7], v[2:3]
	v_mov_b32_e32 v2, 0xffffff80
	v_cndmask_b32_e32 v2, 0, v2, vcc
	v_ldexp_f64 v[2:3], v[4:5], v2
	v_mov_b32_e32 v4, 0x260
	v_cmp_class_f64_e32 vcc, v[0:1], v4
	v_mov_b32_e32 v6, 0x78a05eaf
	v_mov_b32_e32 v7, 0xbf90a5a3
	v_cndmask_b32_e32 v1, v3, v1, vcc
	v_cndmask_b32_e32 v0, v2, v0, vcc
	v_fma_f64 v[2:3], |v[0:1]|, -0.5, 0.5
	v_mul_f64 v[4:5], v[0:1], v[0:1]
	v_cmp_ge_f64_e64 vcc, |v[0:1]|, 0.5
	v_mov_b32_e32 v10, 0x37024d6a
	v_mov_b32_e32 v11, 0x3f940521
	v_cndmask_b32_e32 v5, v5, v3, vcc
	v_cndmask_b32_e32 v4, v4, v2, vcc
	v_fmac_f64_e32 v[6:7], s[0:1], v[4:5]
	v_fmac_f64_e32 v[10:11], v[4:5], v[6:7]
	v_mov_b32_e32 v6, 0x98a70509
	v_mov_b32_e32 v7, 0x3f7ab3a0
	v_fmac_f64_e32 v[6:7], v[4:5], v[10:11]
	v_mov_b32_e32 v10, 0xa300c8d2
	v_mov_b32_e32 v11, 0x3f88ed60
	;; [unrolled: 3-line block ×9, first 2 shown]
	v_fmac_f64_e32 v[6:7], v[4:5], v[10:11]
	v_mul_f64 v[4:5], v[4:5], v[6:7]
	v_fma_f64 v[6:7], |v[0:1]|, v[4:5], |v[0:1]|
	s_and_saveexec_b64 s[0:1], vcc
	s_cbranch_execz .LBB0_27
; %bb.26:
	v_rsq_f64_e32 v[6:7], v[2:3]
	v_cmp_eq_f64_e32 vcc, 0, v[2:3]
	s_mov_b32 s4, 0x54442d18
	s_mov_b32 s5, 0x3fe921fb
	v_mul_f64 v[10:11], v[2:3], v[6:7]
	v_mul_f64 v[6:7], v[6:7], 0.5
	v_fma_f64 v[12:13], -v[6:7], v[10:11], 0.5
	v_fmac_f64_e32 v[10:11], v[10:11], v[12:13]
	v_fmac_f64_e32 v[6:7], v[6:7], v[12:13]
	v_fma_f64 v[12:13], -v[10:11], v[10:11], v[2:3]
	v_fmac_f64_e32 v[10:11], v[12:13], v[6:7]
	v_cndmask_b32_e32 v7, v11, v3, vcc
	v_cndmask_b32_e32 v6, v10, v2, vcc
	v_add_f64 v[16:17], v[6:7], v[6:7]
	v_rcp_f64_e32 v[18:19], v[16:17]
	v_mul_f64 v[10:11], v[6:7], v[6:7]
	v_add_f64 v[14:15], v[2:3], -v[10:11]
	v_add_f64 v[2:3], v[2:3], -v[14:15]
	v_fma_f64 v[12:13], v[6:7], v[6:7], -v[10:11]
	v_add_f64 v[2:3], v[2:3], -v[10:11]
	v_fma_f64 v[10:11], -v[16:17], v[18:19], 1.0
	v_fmac_f64_e32 v[18:19], v[10:11], v[18:19]
	v_add_f64 v[2:3], v[2:3], -v[12:13]
	v_fma_f64 v[10:11], -v[16:17], v[18:19], 1.0
	v_add_f64 v[2:3], v[14:15], v[2:3]
	v_fmac_f64_e32 v[18:19], v[10:11], v[18:19]
	v_mul_f64 v[10:11], v[2:3], v[18:19]
	v_fma_f64 v[2:3], -v[16:17], v[10:11], v[2:3]
	v_fmac_f64_e32 v[10:11], v[2:3], v[18:19]
	v_cndmask_b32_e64 v3, v11, 0, vcc
	v_cndmask_b32_e64 v2, v10, 0, vcc
	v_add_f64 v[10:11], v[6:7], v[2:3]
	v_add_f64 v[6:7], v[10:11], -v[6:7]
	v_add_f64 v[2:3], v[2:3], -v[6:7]
	v_mul_f64 v[6:7], v[4:5], v[10:11]
	v_fma_f64 v[12:13], v[10:11], v[4:5], -v[6:7]
	v_fmac_f64_e32 v[12:13], v[2:3], v[4:5]
	v_add_f64 v[4:5], v[6:7], v[12:13]
	v_add_f64 v[6:7], v[4:5], -v[6:7]
	v_add_f64 v[6:7], v[12:13], -v[6:7]
	v_add_f64 v[12:13], v[10:11], v[4:5]
	v_add_f64 v[10:11], v[12:13], -v[10:11]
	v_add_f64 v[4:5], v[4:5], -v[10:11]
	v_add_f64 v[2:3], v[2:3], v[6:7]
	v_add_f64 v[2:3], v[2:3], v[4:5]
	;; [unrolled: 1-line block ×3, first 2 shown]
	v_add_f64 v[10:11], -v[4:5], s[4:5]
	v_add_f64 v[6:7], v[4:5], -v[12:13]
	v_add_f64 v[12:13], -v[10:11], s[4:5]
	s_mov_b32 s4, 0x33145c07
	v_add_f64 v[4:5], v[12:13], -v[4:5]
	s_mov_b32 s5, 0x3c81a626
	v_add_f64 v[4:5], v[4:5], s[4:5]
	v_add_f64 v[2:3], v[6:7], -v[2:3]
	v_add_f64 v[2:3], v[2:3], v[4:5]
	v_add_f64 v[2:3], v[10:11], v[2:3]
	;; [unrolled: 1-line block ×3, first 2 shown]
	v_mov_b32_e32 v4, 0x3ff921fb
	v_cmp_neq_f64_e64 vcc, |v[0:1]|, 1.0
	v_mov_b32_e32 v0, 0x54442d18
	s_nop 0
	v_cndmask_b32_e32 v7, v4, v3, vcc
	v_cndmask_b32_e32 v6, v0, v2, vcc
.LBB0_27:
	s_or_b64 exec, exec, s[0:1]
	s_brev_b32 s0, -2
	v_bfi_b32 v7, s0, v7, v1
	s_mov_b32 s0, 0
	s_mov_b32 s1, 0x40c8e300
	v_mul_f64 v[0:1], v[6:7], s[0:1]
	s_waitcnt lgkmcnt(0)
	v_lshl_add_u64 v[2:3], v[8:9], 3, s[2:3]
	global_store_dwordx2 v[2:3], v[0:1], off
.LBB0_28:
	s_endpgm
	.section	.rodata,"a",@progbits
	.p2align	6, 0x0
	.amdhsa_kernel _Z26compute_haversine_distancePK15HIP_vector_typeIdLj4EEPdi
		.amdhsa_group_segment_fixed_size 0
		.amdhsa_private_segment_fixed_size 0
		.amdhsa_kernarg_size 280
		.amdhsa_user_sgpr_count 2
		.amdhsa_user_sgpr_dispatch_ptr 0
		.amdhsa_user_sgpr_queue_ptr 0
		.amdhsa_user_sgpr_kernarg_segment_ptr 1
		.amdhsa_user_sgpr_dispatch_id 0
		.amdhsa_user_sgpr_kernarg_preload_length 0
		.amdhsa_user_sgpr_kernarg_preload_offset 0
		.amdhsa_user_sgpr_private_segment_size 0
		.amdhsa_uses_dynamic_stack 0
		.amdhsa_enable_private_segment 0
		.amdhsa_system_sgpr_workgroup_id_x 1
		.amdhsa_system_sgpr_workgroup_id_y 0
		.amdhsa_system_sgpr_workgroup_id_z 0
		.amdhsa_system_sgpr_workgroup_info 0
		.amdhsa_system_vgpr_workitem_id 0
		.amdhsa_next_free_vgpr 60
		.amdhsa_next_free_sgpr 26
		.amdhsa_accum_offset 60
		.amdhsa_reserve_vcc 1
		.amdhsa_float_round_mode_32 0
		.amdhsa_float_round_mode_16_64 0
		.amdhsa_float_denorm_mode_32 3
		.amdhsa_float_denorm_mode_16_64 3
		.amdhsa_dx10_clamp 1
		.amdhsa_ieee_mode 1
		.amdhsa_fp16_overflow 0
		.amdhsa_tg_split 0
		.amdhsa_exception_fp_ieee_invalid_op 0
		.amdhsa_exception_fp_denorm_src 0
		.amdhsa_exception_fp_ieee_div_zero 0
		.amdhsa_exception_fp_ieee_overflow 0
		.amdhsa_exception_fp_ieee_underflow 0
		.amdhsa_exception_fp_ieee_inexact 0
		.amdhsa_exception_int_div_zero 0
	.end_amdhsa_kernel
	.text
.Lfunc_end0:
	.size	_Z26compute_haversine_distancePK15HIP_vector_typeIdLj4EEPdi, .Lfunc_end0-_Z26compute_haversine_distancePK15HIP_vector_typeIdLj4EEPdi
                                        ; -- End function
	.set _Z26compute_haversine_distancePK15HIP_vector_typeIdLj4EEPdi.num_vgpr, 60
	.set _Z26compute_haversine_distancePK15HIP_vector_typeIdLj4EEPdi.num_agpr, 0
	.set _Z26compute_haversine_distancePK15HIP_vector_typeIdLj4EEPdi.numbered_sgpr, 26
	.set _Z26compute_haversine_distancePK15HIP_vector_typeIdLj4EEPdi.num_named_barrier, 0
	.set _Z26compute_haversine_distancePK15HIP_vector_typeIdLj4EEPdi.private_seg_size, 0
	.set _Z26compute_haversine_distancePK15HIP_vector_typeIdLj4EEPdi.uses_vcc, 1
	.set _Z26compute_haversine_distancePK15HIP_vector_typeIdLj4EEPdi.uses_flat_scratch, 0
	.set _Z26compute_haversine_distancePK15HIP_vector_typeIdLj4EEPdi.has_dyn_sized_stack, 0
	.set _Z26compute_haversine_distancePK15HIP_vector_typeIdLj4EEPdi.has_recursion, 0
	.set _Z26compute_haversine_distancePK15HIP_vector_typeIdLj4EEPdi.has_indirect_call, 0
	.section	.AMDGPU.csdata,"",@progbits
; Kernel info:
; codeLenInByte = 8168
; TotalNumSgprs: 32
; NumVgprs: 60
; NumAgprs: 0
; TotalNumVgprs: 60
; ScratchSize: 0
; MemoryBound: 0
; FloatMode: 240
; IeeeMode: 1
; LDSByteSize: 0 bytes/workgroup (compile time only)
; SGPRBlocks: 3
; VGPRBlocks: 7
; NumSGPRsForWavesPerEU: 32
; NumVGPRsForWavesPerEU: 60
; AccumOffset: 60
; Occupancy: 8
; WaveLimiterHint : 0
; COMPUTE_PGM_RSRC2:SCRATCH_EN: 0
; COMPUTE_PGM_RSRC2:USER_SGPR: 2
; COMPUTE_PGM_RSRC2:TRAP_HANDLER: 0
; COMPUTE_PGM_RSRC2:TGID_X_EN: 1
; COMPUTE_PGM_RSRC2:TGID_Y_EN: 0
; COMPUTE_PGM_RSRC2:TGID_Z_EN: 0
; COMPUTE_PGM_RSRC2:TIDIG_COMP_CNT: 0
; COMPUTE_PGM_RSRC3_GFX90A:ACCUM_OFFSET: 14
; COMPUTE_PGM_RSRC3_GFX90A:TG_SPLIT: 0
	.text
	.p2alignl 6, 3212836864
	.fill 256, 4, 3212836864
	.section	.AMDGPU.gpr_maximums,"",@progbits
	.set amdgpu.max_num_vgpr, 0
	.set amdgpu.max_num_agpr, 0
	.set amdgpu.max_num_sgpr, 0
	.text
	.type	__hip_cuid_b3cec11246b37c2e,@object ; @__hip_cuid_b3cec11246b37c2e
	.section	.bss,"aw",@nobits
	.globl	__hip_cuid_b3cec11246b37c2e
__hip_cuid_b3cec11246b37c2e:
	.byte	0                               ; 0x0
	.size	__hip_cuid_b3cec11246b37c2e, 1

	.ident	"AMD clang version 22.0.0git (https://github.com/RadeonOpenCompute/llvm-project roc-7.2.4 26084 f58b06dce1f9c15707c5f808fd002e18c2accf7e)"
	.section	".note.GNU-stack","",@progbits
	.addrsig
	.addrsig_sym __hip_cuid_b3cec11246b37c2e
	.amdgpu_metadata
---
amdhsa.kernels:
  - .agpr_count:     0
    .args:
      - .actual_access:  read_only
        .address_space:  global
        .offset:         0
        .size:           8
        .value_kind:     global_buffer
      - .actual_access:  write_only
        .address_space:  global
        .offset:         8
        .size:           8
        .value_kind:     global_buffer
      - .offset:         16
        .size:           4
        .value_kind:     by_value
      - .offset:         24
        .size:           4
        .value_kind:     hidden_block_count_x
      - .offset:         28
        .size:           4
        .value_kind:     hidden_block_count_y
      - .offset:         32
        .size:           4
        .value_kind:     hidden_block_count_z
      - .offset:         36
        .size:           2
        .value_kind:     hidden_group_size_x
      - .offset:         38
        .size:           2
        .value_kind:     hidden_group_size_y
      - .offset:         40
        .size:           2
        .value_kind:     hidden_group_size_z
      - .offset:         42
        .size:           2
        .value_kind:     hidden_remainder_x
      - .offset:         44
        .size:           2
        .value_kind:     hidden_remainder_y
      - .offset:         46
        .size:           2
        .value_kind:     hidden_remainder_z
      - .offset:         64
        .size:           8
        .value_kind:     hidden_global_offset_x
      - .offset:         72
        .size:           8
        .value_kind:     hidden_global_offset_y
      - .offset:         80
        .size:           8
        .value_kind:     hidden_global_offset_z
      - .offset:         88
        .size:           2
        .value_kind:     hidden_grid_dims
    .group_segment_fixed_size: 0
    .kernarg_segment_align: 8
    .kernarg_segment_size: 280
    .language:       OpenCL C
    .language_version:
      - 2
      - 0
    .max_flat_workgroup_size: 1024
    .name:           _Z26compute_haversine_distancePK15HIP_vector_typeIdLj4EEPdi
    .private_segment_fixed_size: 0
    .sgpr_count:     32
    .sgpr_spill_count: 0
    .symbol:         _Z26compute_haversine_distancePK15HIP_vector_typeIdLj4EEPdi.kd
    .uniform_work_group_size: 1
    .uses_dynamic_stack: false
    .vgpr_count:     60
    .vgpr_spill_count: 0
    .wavefront_size: 64
amdhsa.target:   amdgcn-amd-amdhsa--gfx950
amdhsa.version:
  - 1
  - 2
...

	.end_amdgpu_metadata
